;; amdgpu-corpus repo=ROCm/rocFFT kind=compiled arch=gfx1201 opt=O3
	.text
	.amdgcn_target "amdgcn-amd-amdhsa--gfx1201"
	.amdhsa_code_object_version 6
	.protected	fft_rtc_fwd_len192_factors_2_2_6_8_wgs_256_tpt_16_dim2_sp_ip_CI_sbcc_twdbase8_3step_dirReg_intrinsicReadWrite ; -- Begin function fft_rtc_fwd_len192_factors_2_2_6_8_wgs_256_tpt_16_dim2_sp_ip_CI_sbcc_twdbase8_3step_dirReg_intrinsicReadWrite
	.globl	fft_rtc_fwd_len192_factors_2_2_6_8_wgs_256_tpt_16_dim2_sp_ip_CI_sbcc_twdbase8_3step_dirReg_intrinsicReadWrite
	.p2align	8
	.type	fft_rtc_fwd_len192_factors_2_2_6_8_wgs_256_tpt_16_dim2_sp_ip_CI_sbcc_twdbase8_3step_dirReg_intrinsicReadWrite,@function
fft_rtc_fwd_len192_factors_2_2_6_8_wgs_256_tpt_16_dim2_sp_ip_CI_sbcc_twdbase8_3step_dirReg_intrinsicReadWrite: ; @fft_rtc_fwd_len192_factors_2_2_6_8_wgs_256_tpt_16_dim2_sp_ip_CI_sbcc_twdbase8_3step_dirReg_intrinsicReadWrite
; %bb.0:
	s_load_b128 s[4:7], s[0:1], 0x10
	s_mov_b32 s10, ttmp9
	s_mov_b32 s11, 0
	s_mov_b64 s[14:15], 0
	s_wait_kmcnt 0x0
	s_load_b64 s[2:3], s[4:5], 0x8
	s_load_b64 s[4:5], s[0:1], 0x50
	;; [unrolled: 1-line block ×3, first 2 shown]
	s_wait_kmcnt 0x0
	s_add_nc_u64 s[12:13], s[2:3], -1
	s_delay_alu instid0(SALU_CYCLE_1) | instskip(NEXT) | instid1(SALU_CYCLE_1)
	s_lshr_b64 s[12:13], s[12:13], 4
	s_add_nc_u64 s[12:13], s[12:13], 1
	s_delay_alu instid0(SALU_CYCLE_1) | instskip(NEXT) | instid1(VALU_DEP_1)
	v_cmp_lt_u64_e64 s9, s[10:11], s[12:13]
	s_and_b32 vcc_lo, exec_lo, s9
	s_cbranch_vccnz .LBB0_2
; %bb.1:
	v_cvt_f32_u32_e32 v1, s12
	s_sub_co_i32 s14, 0, s12
	s_delay_alu instid0(VALU_DEP_1) | instskip(NEXT) | instid1(TRANS32_DEP_1)
	v_rcp_iflag_f32_e32 v1, v1
	v_mul_f32_e32 v1, 0x4f7ffffe, v1
	s_delay_alu instid0(VALU_DEP_1) | instskip(NEXT) | instid1(VALU_DEP_1)
	v_cvt_u32_f32_e32 v1, v1
	v_readfirstlane_b32 s9, v1
	s_delay_alu instid0(VALU_DEP_1) | instskip(NEXT) | instid1(SALU_CYCLE_1)
	s_mul_i32 s14, s14, s9
	s_mul_hi_u32 s14, s9, s14
	s_delay_alu instid0(SALU_CYCLE_1) | instskip(NEXT) | instid1(SALU_CYCLE_1)
	s_add_co_i32 s9, s9, s14
	s_mul_hi_u32 s9, s10, s9
	s_delay_alu instid0(SALU_CYCLE_1) | instskip(SKIP_2) | instid1(SALU_CYCLE_1)
	s_mul_i32 s14, s9, s12
	s_add_co_i32 s15, s9, 1
	s_sub_co_i32 s14, s10, s14
	s_sub_co_i32 s16, s14, s12
	s_cmp_ge_u32 s14, s12
	s_cselect_b32 s9, s15, s9
	s_cselect_b32 s14, s16, s14
	s_add_co_i32 s15, s9, 1
	s_cmp_ge_u32 s14, s12
	s_cselect_b32 s14, s15, s9
	s_mov_b32 s15, s11
.LBB0_2:
	s_load_b128 s[16:19], s[6:7], 0x8
	v_and_b32_e32 v26, 15, v0
	s_mul_u64 s[6:7], s[14:15], s[12:13]
	v_lshrrev_b32_e32 v99, 4, v0
	s_sub_nc_u64 s[6:7], s[10:11], s[6:7]
	v_mov_b32_e32 v4, 0
	s_lshl_b64 s[6:7], s[6:7], 4
	s_delay_alu instid0(SALU_CYCLE_1)
	v_mov_b32_e32 v38, s7
	s_add_nc_u64 s[10:11], s[6:7], 16
	s_wait_alu 0xfffe
	v_cmp_le_u64_e64 s9, s[10:11], s[2:3]
	s_wait_kmcnt 0x0
	v_mad_co_u64_u32 v[39:40], null, s16, v26, 0
	s_mul_u64 s[10:11], s[18:19], s[14:15]
	s_delay_alu instid0(VALU_DEP_1)
	v_mov_b32_e32 v1, v40
	v_or_b32_e32 v37, s6, v26
	s_mul_u64 s[6:7], s[6:7], s[16:17]
	s_wait_alu 0xfffe
	s_add_nc_u64 s[6:7], s[10:11], s[6:7]
	v_mad_co_u64_u32 v[1:2], null, s17, v26, v[1:2]
	v_mov_b32_e32 v1, 0
	v_cmp_gt_u64_e32 vcc_lo, s[2:3], v[37:38]
	v_mov_b32_e32 v2, 0
	s_or_b32 s3, s9, vcc_lo
	s_wait_alu 0xfffe
	s_and_saveexec_b32 s7, s3
	s_cbranch_execz .LBB0_4
; %bb.3:
	v_mul_lo_u32 v1, s8, v99
	v_mov_b32_e32 v2, 0
	s_delay_alu instid0(VALU_DEP_2) | instskip(NEXT) | instid1(VALU_DEP_1)
	v_add3_u32 v1, s6, v39, v1
	v_lshlrev_b64_e32 v[1:2], 3, v[1:2]
	s_delay_alu instid0(VALU_DEP_1) | instskip(SKIP_1) | instid1(VALU_DEP_2)
	v_add_co_u32 v1, s2, s4, v1
	s_wait_alu 0xf1ff
	v_add_co_ci_u32_e64 v2, s2, s5, v2, s2
	global_load_b64 v[1:2], v[1:2], off
.LBB0_4:
	s_wait_alu 0xfffe
	s_or_b32 exec_lo, exec_lo, s7
	v_mov_b32_e32 v3, 0
	s_and_saveexec_b32 s7, s3
	s_cbranch_execz .LBB0_6
; %bb.5:
	v_or_b32_e32 v3, 0x60, v99
	v_mov_b32_e32 v4, 0
	s_delay_alu instid0(VALU_DEP_2) | instskip(NEXT) | instid1(VALU_DEP_1)
	v_mul_lo_u32 v3, s8, v3
	v_add3_u32 v3, s6, v39, v3
	s_delay_alu instid0(VALU_DEP_1) | instskip(NEXT) | instid1(VALU_DEP_1)
	v_lshlrev_b64_e32 v[3:4], 3, v[3:4]
	v_add_co_u32 v3, s2, s4, v3
	s_wait_alu 0xf1ff
	s_delay_alu instid0(VALU_DEP_2)
	v_add_co_ci_u32_e64 v4, s2, s5, v4, s2
	global_load_b64 v[3:4], v[3:4], off
.LBB0_6:
	s_wait_alu 0xfffe
	s_or_b32 exec_lo, exec_lo, s7
	v_or_b32_e32 v98, 16, v99
	v_dual_mov_b32 v8, 0 :: v_dual_mov_b32 v5, 0
	v_mov_b32_e32 v6, 0
	s_and_saveexec_b32 s7, s3
	s_cbranch_execz .LBB0_8
; %bb.7:
	v_mul_lo_u32 v5, s8, v98
	v_mov_b32_e32 v6, 0
	s_delay_alu instid0(VALU_DEP_2) | instskip(NEXT) | instid1(VALU_DEP_1)
	v_add3_u32 v5, s6, v39, v5
	v_lshlrev_b64_e32 v[5:6], 3, v[5:6]
	s_delay_alu instid0(VALU_DEP_1) | instskip(SKIP_1) | instid1(VALU_DEP_2)
	v_add_co_u32 v5, s2, s4, v5
	s_wait_alu 0xf1ff
	v_add_co_ci_u32_e64 v6, s2, s5, v6, s2
	global_load_b64 v[5:6], v[5:6], off
.LBB0_8:
	s_wait_alu 0xfffe
	s_or_b32 exec_lo, exec_lo, s7
	v_mov_b32_e32 v7, 0
	s_and_saveexec_b32 s7, s3
	s_cbranch_execz .LBB0_10
; %bb.9:
	v_or_b32_e32 v7, 0x70, v99
	v_mov_b32_e32 v8, 0
	s_delay_alu instid0(VALU_DEP_2) | instskip(NEXT) | instid1(VALU_DEP_1)
	v_mul_lo_u32 v7, s8, v7
	v_add3_u32 v7, s6, v39, v7
	s_delay_alu instid0(VALU_DEP_1) | instskip(NEXT) | instid1(VALU_DEP_1)
	v_lshlrev_b64_e32 v[7:8], 3, v[7:8]
	v_add_co_u32 v7, s2, s4, v7
	s_wait_alu 0xf1ff
	s_delay_alu instid0(VALU_DEP_2)
	v_add_co_ci_u32_e64 v8, s2, s5, v8, s2
	global_load_b64 v[7:8], v[7:8], off
.LBB0_10:
	s_wait_alu 0xfffe
	s_or_b32 exec_lo, exec_lo, s7
	v_or_b32_e32 v25, 32, v99
	v_dual_mov_b32 v12, 0 :: v_dual_mov_b32 v9, 0
	v_mov_b32_e32 v10, 0
	s_and_saveexec_b32 s7, s3
	s_cbranch_execz .LBB0_12
; %bb.11:
	v_mul_lo_u32 v9, s8, v25
	v_mov_b32_e32 v10, 0
	s_delay_alu instid0(VALU_DEP_2) | instskip(NEXT) | instid1(VALU_DEP_1)
	v_add3_u32 v9, s6, v39, v9
	v_lshlrev_b64_e32 v[9:10], 3, v[9:10]
	s_delay_alu instid0(VALU_DEP_1) | instskip(SKIP_1) | instid1(VALU_DEP_2)
	v_add_co_u32 v9, s2, s4, v9
	s_wait_alu 0xf1ff
	v_add_co_ci_u32_e64 v10, s2, s5, v10, s2
	global_load_b64 v[9:10], v[9:10], off
.LBB0_12:
	s_wait_alu 0xfffe
	s_or_b32 exec_lo, exec_lo, s7
	v_mov_b32_e32 v11, 0
	s_and_saveexec_b32 s7, s3
	s_cbranch_execz .LBB0_14
; %bb.13:
	v_or_b32_e32 v11, 0x80, v99
	v_mov_b32_e32 v12, 0
	s_delay_alu instid0(VALU_DEP_2) | instskip(NEXT) | instid1(VALU_DEP_1)
	v_mul_lo_u32 v11, s8, v11
	v_add3_u32 v11, s6, v39, v11
	s_delay_alu instid0(VALU_DEP_1) | instskip(NEXT) | instid1(VALU_DEP_1)
	v_lshlrev_b64_e32 v[11:12], 3, v[11:12]
	v_add_co_u32 v11, s2, s4, v11
	s_wait_alu 0xf1ff
	s_delay_alu instid0(VALU_DEP_2)
	v_add_co_ci_u32_e64 v12, s2, s5, v12, s2
	global_load_b64 v[11:12], v[11:12], off
.LBB0_14:
	s_wait_alu 0xfffe
	s_or_b32 exec_lo, exec_lo, s7
	v_or_b32_e32 v100, 48, v99
	v_dual_mov_b32 v16, 0 :: v_dual_mov_b32 v13, 0
	v_mov_b32_e32 v14, 0
	s_and_saveexec_b32 s7, s3
	s_cbranch_execz .LBB0_16
; %bb.15:
	v_mul_lo_u32 v13, s8, v100
	v_mov_b32_e32 v14, 0
	s_delay_alu instid0(VALU_DEP_2) | instskip(NEXT) | instid1(VALU_DEP_1)
	v_add3_u32 v13, s6, v39, v13
	v_lshlrev_b64_e32 v[13:14], 3, v[13:14]
	s_delay_alu instid0(VALU_DEP_1) | instskip(SKIP_1) | instid1(VALU_DEP_2)
	v_add_co_u32 v13, s2, s4, v13
	s_wait_alu 0xf1ff
	v_add_co_ci_u32_e64 v14, s2, s5, v14, s2
	global_load_b64 v[13:14], v[13:14], off
.LBB0_16:
	s_wait_alu 0xfffe
	s_or_b32 exec_lo, exec_lo, s7
	v_mov_b32_e32 v15, 0
	s_and_saveexec_b32 s7, s3
	s_cbranch_execz .LBB0_18
; %bb.17:
	v_or_b32_e32 v15, 0x90, v99
	v_mov_b32_e32 v16, 0
	s_delay_alu instid0(VALU_DEP_2) | instskip(NEXT) | instid1(VALU_DEP_1)
	v_mul_lo_u32 v15, s8, v15
	v_add3_u32 v15, s6, v39, v15
	s_delay_alu instid0(VALU_DEP_1) | instskip(NEXT) | instid1(VALU_DEP_1)
	v_lshlrev_b64_e32 v[15:16], 3, v[15:16]
	v_add_co_u32 v15, s2, s4, v15
	s_wait_alu 0xf1ff
	s_delay_alu instid0(VALU_DEP_2)
	v_add_co_ci_u32_e64 v16, s2, s5, v16, s2
	global_load_b64 v[15:16], v[15:16], off
.LBB0_18:
	s_wait_alu 0xfffe
	s_or_b32 exec_lo, exec_lo, s7
	v_dual_mov_b32 v20, 0 :: v_dual_mov_b32 v17, 0
	v_or_b32_e32 v27, 64, v99
	v_mov_b32_e32 v18, 0
	s_and_saveexec_b32 s7, s3
	s_cbranch_execz .LBB0_20
; %bb.19:
	s_delay_alu instid0(VALU_DEP_2) | instskip(SKIP_1) | instid1(VALU_DEP_2)
	v_mul_lo_u32 v17, s8, v27
	v_mov_b32_e32 v18, 0
	v_add3_u32 v17, s6, v39, v17
	s_delay_alu instid0(VALU_DEP_1) | instskip(NEXT) | instid1(VALU_DEP_1)
	v_lshlrev_b64_e32 v[17:18], 3, v[17:18]
	v_add_co_u32 v17, s2, s4, v17
	s_wait_alu 0xf1ff
	s_delay_alu instid0(VALU_DEP_2)
	v_add_co_ci_u32_e64 v18, s2, s5, v18, s2
	global_load_b64 v[17:18], v[17:18], off
.LBB0_20:
	s_wait_alu 0xfffe
	s_or_b32 exec_lo, exec_lo, s7
	v_mov_b32_e32 v19, 0
	s_and_saveexec_b32 s7, s3
	s_cbranch_execz .LBB0_22
; %bb.21:
	v_or_b32_e32 v19, 0xa0, v99
	v_mov_b32_e32 v20, 0
	s_delay_alu instid0(VALU_DEP_2) | instskip(NEXT) | instid1(VALU_DEP_1)
	v_mul_lo_u32 v19, s8, v19
	v_add3_u32 v19, s6, v39, v19
	s_delay_alu instid0(VALU_DEP_1) | instskip(NEXT) | instid1(VALU_DEP_1)
	v_lshlrev_b64_e32 v[19:20], 3, v[19:20]
	v_add_co_u32 v19, s2, s4, v19
	s_wait_alu 0xf1ff
	s_delay_alu instid0(VALU_DEP_2)
	v_add_co_ci_u32_e64 v20, s2, s5, v20, s2
	global_load_b64 v[19:20], v[19:20], off
.LBB0_22:
	s_wait_alu 0xfffe
	s_or_b32 exec_lo, exec_lo, s7
	s_load_b64 s[10:11], s[0:1], 0x0
	v_or_b32_e32 v28, 0x50, v99
	v_dual_mov_b32 v24, 0 :: v_dual_mov_b32 v21, 0
	v_mov_b32_e32 v22, 0
	s_and_saveexec_b32 s7, s3
	s_cbranch_execz .LBB0_24
; %bb.23:
	v_mul_lo_u32 v21, s8, v28
	v_mov_b32_e32 v22, 0
	s_delay_alu instid0(VALU_DEP_2) | instskip(NEXT) | instid1(VALU_DEP_1)
	v_add3_u32 v21, s6, v39, v21
	v_lshlrev_b64_e32 v[21:22], 3, v[21:22]
	s_delay_alu instid0(VALU_DEP_1) | instskip(SKIP_1) | instid1(VALU_DEP_2)
	v_add_co_u32 v21, s2, s4, v21
	s_wait_alu 0xf1ff
	v_add_co_ci_u32_e64 v22, s2, s5, v22, s2
	global_load_b64 v[21:22], v[21:22], off
.LBB0_24:
	s_wait_alu 0xfffe
	s_or_b32 exec_lo, exec_lo, s7
	v_mov_b32_e32 v23, 0
	s_and_saveexec_b32 s7, s3
	s_cbranch_execz .LBB0_26
; %bb.25:
	v_or_b32_e32 v23, 0xb0, v99
	v_mov_b32_e32 v24, 0
	s_delay_alu instid0(VALU_DEP_2) | instskip(NEXT) | instid1(VALU_DEP_1)
	v_mul_lo_u32 v23, s8, v23
	v_add3_u32 v23, s6, v39, v23
	s_delay_alu instid0(VALU_DEP_1) | instskip(NEXT) | instid1(VALU_DEP_1)
	v_lshlrev_b64_e32 v[23:24], 3, v[23:24]
	v_add_co_u32 v23, s2, s4, v23
	s_wait_alu 0xf1ff
	s_delay_alu instid0(VALU_DEP_2)
	v_add_co_ci_u32_e64 v24, s2, s5, v24, s2
	global_load_b64 v[23:24], v[23:24], off
.LBB0_26:
	s_wait_alu 0xfffe
	s_or_b32 exec_lo, exec_lo, s7
	s_wait_loadcnt 0x0
	v_dual_sub_f32 v3, v1, v3 :: v_dual_sub_f32 v4, v2, v4
	v_dual_sub_f32 v7, v5, v7 :: v_dual_sub_f32 v8, v6, v8
	v_sub_f32_e32 v23, v21, v23
	s_delay_alu instid0(VALU_DEP_3) | instskip(NEXT) | instid1(VALU_DEP_4)
	v_fma_f32 v29, v1, 2.0, -v3
	v_fma_f32 v30, v2, 2.0, -v4
	v_lshlrev_b32_e32 v2, 8, v99
	v_dual_sub_f32 v24, v22, v24 :: v_dual_lshlrev_b32 v1, 3, v26
	v_lshlrev_b32_e32 v26, 8, v98
	v_fma_f32 v5, v5, 2.0, -v7
	v_fma_f32 v6, v6, 2.0, -v8
	s_delay_alu instid0(VALU_DEP_4)
	v_add3_u32 v2, 0, v2, v1
	v_dual_sub_f32 v11, v9, v11 :: v_dual_sub_f32 v12, v10, v12
	v_dual_sub_f32 v15, v13, v15 :: v_dual_sub_f32 v16, v14, v16
	ds_store_2addr_b64 v2, v[29:30], v[3:4] offset1:16
	v_add3_u32 v2, 0, v26, v1
	v_lshlrev_b32_e32 v3, 8, v25
	v_dual_sub_f32 v19, v17, v19 :: v_dual_lshlrev_b32 v4, 8, v100
	v_sub_f32_e32 v20, v18, v20
	ds_store_2addr_b64 v2, v[5:6], v[7:8] offset1:16
	v_bfe_u32 v7, v0, 4, 1
	v_lshlrev_b32_e32 v26, 8, v27
	v_lshlrev_b32_e32 v29, 8, v28
	v_fma_f32 v9, v9, 2.0, -v11
	v_fma_f32 v10, v10, 2.0, -v12
	v_add3_u32 v3, 0, v3, v1
	v_lshlrev_b32_e32 v8, 3, v7
	v_fma_f32 v13, v13, 2.0, -v15
	v_fma_f32 v14, v14, 2.0, -v16
	v_add3_u32 v4, 0, v4, v1
	v_fma_f32 v17, v17, 2.0, -v19
	v_fma_f32 v18, v18, 2.0, -v20
	v_add3_u32 v5, 0, v26, v1
	;; [unrolled: 3-line block ×3, first 2 shown]
	ds_store_2addr_b64 v3, v[9:10], v[11:12] offset1:16
	ds_store_2addr_b64 v4, v[13:14], v[15:16] offset1:16
	;; [unrolled: 1-line block ×4, first 2 shown]
	global_wb scope:SCOPE_SE
	s_wait_dscnt 0x0
	s_wait_kmcnt 0x0
	s_barrier_signal -1
	s_barrier_wait -1
	global_inv scope:SCOPE_SE
	global_load_b64 v[10:11], v8, s[10:11]
	v_and_b32_e32 v8, 0xf0, v0
	v_lshlrev_b32_e32 v13, 1, v99
	v_lshlrev_b32_e32 v9, 7, v98
	;; [unrolled: 1-line block ×7, first 2 shown]
	v_and_or_b32 v22, v13, 28, v7
	v_sub_nc_u32_e32 v12, v3, v12
	v_add3_u32 v13, 0, v8, v1
	v_sub_nc_u32_e32 v38, v4, v15
	v_and_or_b32 v23, v14, 60, v7
	v_sub_nc_u32_e32 v14, v2, v9
	v_sub_nc_u32_e32 v34, v5, v16
	ds_load_2addr_stride64_b64 v[2:5], v13 offset1:24
	v_lshlrev_b32_e32 v18, 1, v25
	v_lshlrev_b32_e32 v20, 1, v27
	;; [unrolled: 1-line block ×3, first 2 shown]
	v_bfe_u32 v33, v0, 4, 2
	v_lshlrev_b32_e32 v17, 7, v28
	v_and_or_b32 v18, 0x7c, v18, v7
	v_and_or_b32 v20, 0x9c, v20, v7
	v_lshlrev_b32_e32 v31, 7, v22
	v_lshlrev_b32_e32 v32, 7, v23
	v_sub_nc_u32_e32 v25, v6, v17
	v_lshlrev_b32_e32 v35, 7, v18
	v_lshlrev_b32_e32 v40, 7, v20
	s_mov_b32 s7, exec_lo
                                        ; implicit-def: $vgpr69
	s_delay_alu instid0(VALU_DEP_1) | instskip(SKIP_4) | instid1(VALU_DEP_3)
	v_add3_u32 v40, 0, v40, v1
	s_wait_loadcnt_dscnt 0x0
	v_mul_f32_e32 v44, v11, v4
	v_lshlrev_b32_e32 v19, 1, v100
	v_mul_f32_e32 v43, v11, v5
	v_fmac_f32_e32 v44, v10, v5
	s_delay_alu instid0(VALU_DEP_3) | instskip(SKIP_3) | instid1(VALU_DEP_4)
	v_and_or_b32 v19, 0x7c, v19, v7
	v_and_or_b32 v7, 0xfc, v21, v7
	v_mul_u32_u24_e32 v21, 5, v33
	v_fma_f32 v4, v10, v4, -v43
	v_dual_sub_f32 v5, v3, v44 :: v_dual_lshlrev_b32 v36, 7, v19
	s_delay_alu instid0(VALU_DEP_4) | instskip(NEXT) | instid1(VALU_DEP_4)
	v_lshlrev_b32_e32 v41, 7, v7
	v_lshlrev_b32_e32 v42, 3, v21
	ds_load_2addr_stride64_b64 v[6:9], v13 offset0:28 offset1:32
	ds_load_b64 v[19:20], v12
	ds_load_b64 v[21:22], v38
	ds_load_2addr_stride64_b64 v[15:18], v13 offset0:36 offset1:40
	ds_load_b64 v[23:24], v34
	ds_load_b64 v[25:26], v25
	;; [unrolled: 1-line block ×3, first 2 shown]
	ds_load_b64 v[29:30], v13 offset:22528
	v_sub_f32_e32 v4, v2, v4
	v_fma_f32 v3, v3, 2.0, -v5
	v_add3_u32 v36, 0, v36, v1
	global_wb scope:SCOPE_SE
	s_wait_dscnt 0x0
	s_barrier_signal -1
	v_fma_f32 v2, v2, 2.0, -v4
	s_barrier_wait -1
	global_inv scope:SCOPE_SE
	v_mul_f32_e32 v45, v11, v7
	v_mul_f32_e32 v46, v11, v6
	;; [unrolled: 1-line block ×10, first 2 shown]
	v_fma_f32 v6, v10, v6, -v45
	v_fmac_f32_e32 v46, v10, v7
	v_fma_f32 v8, v10, v8, -v47
	v_fmac_f32_e32 v48, v10, v9
	;; [unrolled: 2-line block ×5, first 2 shown]
	v_sub_f32_e32 v6, v27, v6
	v_dual_sub_f32 v7, v28, v46 :: v_dual_sub_f32 v8, v19, v8
	v_dual_sub_f32 v9, v20, v48 :: v_dual_sub_f32 v10, v21, v15
	v_sub_f32_e32 v11, v22, v50
	v_sub_f32_e32 v15, v23, v16
	;; [unrolled: 1-line block ×3, first 2 shown]
	v_add3_u32 v31, 0, v31, v1
	v_dual_sub_f32 v17, v25, v17 :: v_dual_sub_f32 v18, v26, v30
	v_add3_u32 v32, 0, v32, v1
	v_fma_f32 v27, v27, 2.0, -v6
	v_fma_f32 v28, v28, 2.0, -v7
	v_add3_u32 v35, 0, v35, v1
	v_fma_f32 v19, v19, 2.0, -v8
	v_fma_f32 v20, v20, 2.0, -v9
	;; [unrolled: 1-line block ×6, first 2 shown]
	v_add3_u32 v41, 0, v41, v1
	v_fma_f32 v25, v25, 2.0, -v17
	v_fma_f32 v26, v26, 2.0, -v18
	ds_store_2addr_b64 v31, v[2:3], v[4:5] offset1:32
	ds_store_2addr_b64 v32, v[27:28], v[6:7] offset1:32
	;; [unrolled: 1-line block ×6, first 2 shown]
	global_wb scope:SCOPE_SE
	s_wait_dscnt 0x0
	s_barrier_signal -1
	s_barrier_wait -1
	global_inv scope:SCOPE_SE
	s_clause 0x2
	global_load_b128 v[2:5], v42, s[10:11] offset:16
	global_load_b128 v[6:9], v42, s[10:11] offset:32
	global_load_b64 v[10:11], v42, s[10:11] offset:48
	v_lshrrev_b32_e32 v15, 6, v0
	v_lshrrev_b32_e32 v16, 2, v98
	ds_load_b64 v[31:32], v12
	v_mul_u32_u24_e32 v15, 24, v15
	v_mul_u32_u24_e32 v16, 24, v16
	s_delay_alu instid0(VALU_DEP_2) | instskip(NEXT) | instid1(VALU_DEP_2)
	v_or_b32_e32 v19, v15, v33
	v_or_b32_e32 v12, v16, v33
	ds_load_b64 v[33:34], v34
	ds_load_2addr_stride64_b64 v[15:18], v13 offset0:20 offset1:24
	v_lshlrev_b32_e32 v35, 7, v19
	ds_load_2addr_stride64_b64 v[19:22], v13 offset0:28 offset1:32
	ds_load_2addr_stride64_b64 v[23:26], v13 offset0:36 offset1:40
	ds_load_2addr_stride64_b64 v[27:30], v13 offset1:12
	v_lshlrev_b32_e32 v12, 7, v12
	v_add3_u32 v42, 0, v35, v1
	ds_load_b64 v[35:36], v14
	ds_load_b64 v[40:41], v13 offset:22528
	global_wb scope:SCOPE_SE
	s_wait_loadcnt_dscnt 0x0
	s_barrier_signal -1
	s_barrier_wait -1
	global_inv scope:SCOPE_SE
	v_mul_f32_e32 v45, v5, v33
	v_mul_f32_e32 v55, v24, v9
	v_add3_u32 v43, 0, v12, v1
	v_dual_mul_f32 v1, v3, v32 :: v_dual_mul_f32 v12, v5, v34
	v_mul_f32_e32 v46, v7, v18
	v_mul_f32_e32 v47, v7, v17
	;; [unrolled: 1-line block ×5, first 2 shown]
	v_dual_mul_f32 v5, v15, v5 :: v_dual_mul_f32 v48, v9, v22
	v_mul_f32_e32 v9, v23, v9
	v_mul_f32_e32 v50, v11, v26
	v_dual_mul_f32 v44, v3, v31 :: v_dual_fmac_f32 v45, v4, v34
	v_dual_mul_f32 v52, v30, v3 :: v_dual_fmac_f32 v49, v8, v22
	v_mul_f32_e32 v3, v29, v3
	v_dual_mul_f32 v54, v20, v7 :: v_dual_fmac_f32 v47, v6, v18
	v_mul_f32_e32 v7, v19, v7
	;; [unrolled: 2-line block ×3, first 2 shown]
	v_fma_f32 v31, v2, v31, -v1
	v_fma_f32 v1, v4, v33, -v12
	;; [unrolled: 1-line block ×3, first 2 shown]
	v_fmac_f32_e32 v5, v16, v4
	v_fma_f32 v17, v8, v21, -v48
	v_fmac_f32_e32 v9, v24, v8
	v_fma_f32 v18, v10, v25, -v50
	v_dual_fmac_f32 v44, v2, v32 :: v_dual_fmac_f32 v7, v20, v6
	v_fma_f32 v21, v29, v2, -v52
	v_fmac_f32_e32 v3, v30, v2
	v_fma_f32 v2, v15, v4, -v53
	v_fma_f32 v4, v19, v6, -v54
	;; [unrolled: 1-line block ×4, first 2 shown]
	v_dual_fmac_f32 v11, v41, v10 :: v_dual_add_f32 v22, v31, v12
	v_add_f32_e32 v10, v27, v1
	v_dual_add_f32 v15, v1, v17 :: v_dual_sub_f32 v24, v47, v51
	v_dual_sub_f32 v16, v45, v49 :: v_dual_add_f32 v23, v12, v18
	v_dual_add_f32 v19, v28, v45 :: v_dual_add_f32 v26, v47, v51
	v_dual_add_f32 v20, v45, v49 :: v_dual_add_f32 v25, v44, v47
	v_dual_add_f32 v34, v21, v4 :: v_dual_sub_f32 v41, v7, v11
	v_dual_add_f32 v40, v4, v8 :: v_dual_add_f32 v45, v3, v7
	v_dual_add_f32 v7, v7, v11 :: v_dual_sub_f32 v4, v4, v8
	v_dual_add_f32 v29, v35, v2 :: v_dual_sub_f32 v32, v5, v9
	v_dual_add_f32 v30, v2, v6 :: v_dual_add_f32 v33, v36, v5
	v_dual_add_f32 v5, v5, v9 :: v_dual_sub_f32 v2, v2, v6
	v_dual_sub_f32 v1, v1, v17 :: v_dual_sub_f32 v12, v12, v18
	v_dual_add_f32 v10, v10, v17 :: v_dual_fmac_f32 v31, -0.5, v23
	v_fma_f32 v27, -0.5, v15, v27
	v_dual_fmac_f32 v44, -0.5, v26 :: v_dual_add_f32 v15, v19, v49
	v_fma_f32 v28, -0.5, v20, v28
	v_dual_add_f32 v17, v22, v18 :: v_dual_fmac_f32 v36, -0.5, v5
	v_dual_add_f32 v18, v25, v51 :: v_dual_fmac_f32 v21, -0.5, v40
	v_add_f32_e32 v20, v45, v11
	v_dual_fmac_f32 v3, -0.5, v7 :: v_dual_add_f32 v6, v29, v6
	v_add_f32_e32 v5, v34, v8
	v_fma_f32 v25, -0.5, v30, v35
	v_dual_add_f32 v19, v33, v9 :: v_dual_fmamk_f32 v22, v16, 0x3f5db3d7, v27
	v_add_f32_e32 v7, v10, v17
	v_fmac_f32_e32 v27, 0xbf5db3d7, v16
	v_dual_fmamk_f32 v16, v24, 0x3f5db3d7, v31 :: v_dual_sub_f32 v9, v10, v17
	v_dual_fmac_f32 v31, 0xbf5db3d7, v24 :: v_dual_sub_f32 v10, v15, v18
	v_fmamk_f32 v24, v12, 0xbf5db3d7, v44
	v_fmac_f32_e32 v44, 0x3f5db3d7, v12
	v_dual_fmamk_f32 v23, v1, 0xbf5db3d7, v28 :: v_dual_add_f32 v8, v15, v18
	v_dual_fmac_f32 v28, 0x3f5db3d7, v1 :: v_dual_fmamk_f32 v15, v41, 0x3f5db3d7, v21
	v_fmamk_f32 v17, v4, 0xbf5db3d7, v3
	v_dual_fmamk_f32 v29, v2, 0xbf5db3d7, v36 :: v_dual_add_f32 v12, v19, v20
	v_dual_fmac_f32 v36, 0x3f5db3d7, v2 :: v_dual_fmac_f32 v3, 0x3f5db3d7, v4
	v_dual_fmac_f32 v21, 0xbf5db3d7, v41 :: v_dual_sub_f32 v2, v19, v20
	v_dual_fmamk_f32 v26, v32, 0x3f5db3d7, v25 :: v_dual_add_f32 v11, v6, v5
	v_dual_sub_f32 v1, v6, v5 :: v_dual_mul_f32 v4, 0x3f5db3d7, v24
	v_dual_mul_f32 v6, 0xbf5db3d7, v16 :: v_dual_mul_f32 v5, -0.5, v31
	v_mul_f32_e32 v30, -0.5, v44
	v_dual_fmac_f32 v25, 0xbf5db3d7, v32 :: v_dual_mul_f32 v34, 0xbf5db3d7, v15
	v_dual_mul_f32 v32, 0x3f5db3d7, v17 :: v_dual_mul_f32 v35, -0.5, v3
	v_dual_mul_f32 v33, -0.5, v21 :: v_dual_fmac_f32 v4, 0.5, v16
	v_fmac_f32_e32 v6, 0.5, v24
	s_delay_alu instid0(VALU_DEP_3) | instskip(NEXT) | instid1(VALU_DEP_4)
	v_dual_fmac_f32 v5, 0x3f5db3d7, v44 :: v_dual_fmac_f32 v32, 0.5, v15
	v_dual_fmac_f32 v30, 0xbf5db3d7, v31 :: v_dual_fmac_f32 v35, 0xbf5db3d7, v21
	s_delay_alu instid0(VALU_DEP_4) | instskip(NEXT) | instid1(VALU_DEP_4)
	v_dual_fmac_f32 v34, 0.5, v17 :: v_dual_add_f32 v15, v22, v4
	v_dual_fmac_f32 v33, 0x3f5db3d7, v3 :: v_dual_add_f32 v16, v23, v6
	v_sub_f32_e32 v19, v22, v4
	s_delay_alu instid0(VALU_DEP_4)
	v_dual_add_f32 v17, v27, v5 :: v_dual_add_f32 v18, v28, v30
	v_dual_sub_f32 v21, v27, v5 :: v_dual_sub_f32 v22, v28, v30
	v_dual_sub_f32 v20, v23, v6 :: v_dual_add_f32 v23, v26, v32
	v_dual_add_f32 v24, v29, v34 :: v_dual_sub_f32 v3, v26, v32
	v_dual_add_f32 v40, v25, v33 :: v_dual_add_f32 v41, v36, v35
	v_dual_sub_f32 v5, v25, v33 :: v_dual_sub_f32 v6, v36, v35
	v_sub_f32_e32 v4, v29, v34
	ds_store_2addr_stride64_b64 v42, v[7:8], v[15:16] offset1:1
	ds_store_2addr_stride64_b64 v42, v[17:18], v[9:10] offset0:2 offset1:3
	ds_store_2addr_stride64_b64 v42, v[19:20], v[21:22] offset0:4 offset1:5
	ds_store_2addr_stride64_b64 v43, v[11:12], v[23:24] offset1:1
	ds_store_2addr_stride64_b64 v43, v[40:41], v[1:2] offset0:2 offset1:3
	ds_store_2addr_stride64_b64 v43, v[3:4], v[5:6] offset0:4 offset1:5
	global_wb scope:SCOPE_SE
	s_wait_dscnt 0x0
	s_barrier_signal -1
	s_barrier_wait -1
	global_inv scope:SCOPE_SE
	ds_load_2addr_stride64_b64 v[21:24], v13 offset1:6
	ds_load_2addr_stride64_b64 v[29:32], v13 offset0:18 offset1:24
	ds_load_2addr_stride64_b64 v[33:36], v13 offset0:30 offset1:36
	ds_load_b64 v[94:95], v38
	ds_load_b64 v[96:97], v13 offset:21504
                                        ; implicit-def: $vgpr10
	v_cmpx_gt_u32_e32 0x80, v0
	s_cbranch_execz .LBB0_28
; %bb.27:
	ds_load_2addr_stride64_b64 v[1:4], v13 offset0:10 offset1:16
	ds_load_2addr_stride64_b64 v[5:8], v13 offset0:22 offset1:28
	;; [unrolled: 1-line block ×3, first 2 shown]
	ds_load_b64 v[40:41], v14
	ds_load_b64 v[68:69], v13 offset:23552
.LBB0_28:
	s_wait_alu 0xfffe
	s_or_b32 exec_lo, exec_lo, s7
	v_mul_lo_u16 v13, v98, 11
	s_load_b64 s[0:1], s[0:1], 0x8
	s_delay_alu instid0(VALU_DEP_1) | instskip(NEXT) | instid1(VALU_DEP_1)
	v_lshrrev_b16 v101, 8, v13
	v_mul_lo_u16 v13, v101, 24
	s_delay_alu instid0(VALU_DEP_1) | instskip(NEXT) | instid1(VALU_DEP_1)
	v_sub_nc_u16 v13, v98, v13
	v_and_b32_e32 v38, 0xff, v13
	s_delay_alu instid0(VALU_DEP_1)
	v_add_nc_u32_e32 v15, 24, v38
	v_mul_lo_u32 v14, v37, v38
	v_add_nc_u32_e32 v16, 48, v38
	v_add_nc_u32_e32 v17, 0x48, v38
	v_mul_u32_u24_e32 v13, 7, v38
	v_mul_lo_u32 v43, v37, v15
	v_or_b32_e32 v42, 0x60, v38
	v_mul_lo_u32 v44, v37, v16
	v_mul_lo_u32 v45, v37, v17
	v_and_b32_e32 v46, 0xff, v14
	v_lshrrev_b32_e32 v47, 5, v14
	v_lshrrev_b32_e32 v48, 13, v14
	v_lshlrev_b32_e32 v25, 3, v13
	v_and_b32_e32 v49, 0xff, v43
	v_lshrrev_b32_e32 v50, 5, v43
	v_lshrrev_b32_e32 v43, 13, v43
	v_lshlrev_b32_e32 v46, 3, v46
	v_and_b32_e32 v51, 0xff, v44
	v_lshrrev_b32_e32 v52, 5, v44
	v_and_b32_e32 v47, 0x7f8, v47
	v_lshrrev_b32_e32 v44, 13, v44
	v_and_b32_e32 v48, 0x7f8, v48
	v_and_b32_e32 v53, 0xff, v45
	v_lshrrev_b32_e32 v54, 5, v45
	v_lshlrev_b32_e32 v49, 3, v49
	v_lshrrev_b32_e32 v45, 13, v45
	v_and_b32_e32 v50, 0x7f8, v50
	v_and_b32_e32 v43, 0x7f8, v43
	s_clause 0x3
	global_load_b64 v[92:93], v25, s[10:11] offset:224
	global_load_b128 v[13:16], v25, s[10:11] offset:208
	global_load_b128 v[17:20], v25, s[10:11] offset:192
	;; [unrolled: 1-line block ×3, first 2 shown]
	v_lshlrev_b32_e32 v51, 3, v51
	v_and_b32_e32 v52, 0x7f8, v52
	s_wait_kmcnt 0x0
	s_clause 0x7
	global_load_b64 v[88:89], v46, s[0:1]
	global_load_b64 v[90:91], v47, s[0:1] offset:2048
	global_load_b64 v[86:87], v48, s[0:1] offset:4096
	global_load_b64 v[82:83], v49, s[0:1]
	global_load_b64 v[84:85], v50, s[0:1] offset:2048
	global_load_b64 v[78:79], v43, s[0:1] offset:4096
	global_load_b64 v[58:59], v51, s[0:1]
	global_load_b64 v[60:61], v52, s[0:1] offset:2048
	v_add_nc_u32_e32 v43, 0x78, v38
	v_and_b32_e32 v44, 0x7f8, v44
	v_lshlrev_b32_e32 v46, 3, v53
	v_mul_lo_u32 v42, v37, v42
	v_and_b32_e32 v47, 0x7f8, v54
	v_and_b32_e32 v45, 0x7f8, v45
	v_mul_lo_u32 v43, v37, v43
	s_clause 0x3
	global_load_b64 v[64:65], v44, s[0:1] offset:4096
	global_load_b64 v[74:75], v46, s[0:1]
	global_load_b64 v[76:77], v47, s[0:1] offset:2048
	global_load_b64 v[56:57], v45, s[0:1] offset:4096
	v_add_nc_u32_e32 v44, 0x90, v38
	v_add_nc_u32_e32 v38, 0xa8, v38
	v_and_b32_e32 v45, 0xff, v42
	v_lshrrev_b32_e32 v46, 5, v42
	s_delay_alu instid0(VALU_DEP_4)
	v_mul_lo_u32 v44, v37, v44
	v_lshrrev_b32_e32 v42, 13, v42
	v_and_b32_e32 v47, 0xff, v43
	v_mul_lo_u32 v38, v37, v38
	v_lshlrev_b32_e32 v45, 3, v45
	v_and_b32_e32 v46, 0x7f8, v46
	v_lshrrev_b32_e32 v48, 5, v43
	v_and_b32_e32 v42, 0x7f8, v42
	v_lshlrev_b32_e32 v47, 3, v47
	v_lshrrev_b32_e32 v43, 13, v43
	v_and_b32_e32 v49, 0xff, v44
	s_clause 0x3
	global_load_b64 v[66:67], v45, s[0:1]
	global_load_b64 v[70:71], v46, s[0:1] offset:2048
	global_load_b64 v[54:55], v42, s[0:1] offset:4096
	global_load_b64 v[62:63], v47, s[0:1]
	v_lshrrev_b32_e32 v46, 5, v44
	v_and_b32_e32 v42, 0x7f8, v48
	v_lshrrev_b32_e32 v44, 13, v44
	v_and_b32_e32 v47, 0xff, v38
	v_lshrrev_b32_e32 v48, 5, v38
	v_lshrrev_b32_e32 v38, 13, v38
	v_and_b32_e32 v43, 0x7f8, v43
	v_lshlrev_b32_e32 v45, 3, v49
	v_and_b32_e32 v46, 0x7f8, v46
	v_and_b32_e32 v44, 0x7f8, v44
	v_lshlrev_b32_e32 v47, 3, v47
	v_and_b32_e32 v48, 0x7f8, v48
	v_and_b32_e32 v38, 0x7f8, v38
	s_clause 0x7
	global_load_b64 v[80:81], v42, s[0:1] offset:2048
	global_load_b64 v[72:73], v43, s[0:1] offset:4096
	global_load_b64 v[50:51], v45, s[0:1]
	global_load_b64 v[52:53], v46, s[0:1] offset:2048
	global_load_b64 v[44:45], v44, s[0:1] offset:4096
	global_load_b64 v[46:47], v47, s[0:1]
	global_load_b64 v[48:49], v48, s[0:1] offset:2048
	global_load_b64 v[42:43], v38, s[0:1] offset:4096
	v_add_nc_u32_e32 v38, s6, v39
	s_and_saveexec_b32 s2, s3
	s_cbranch_execz .LBB0_30
; %bb.29:
	v_add_nc_u32_e32 v39, 0xa8, v99
	v_mul_u32_u24_e32 v102, 7, v99
	v_or_b32_e32 v174, 0x90, v99
	v_add_nc_u32_e32 v172, 0x78, v99
	v_or_b32_e32 v170, 0x60, v99
	v_add_nc_u32_e32 v168, 0x48, v99
	v_add_nc_u32_e32 v166, 24, v99
	v_mad_co_u64_u32 v[164:165], null, s8, v99, v[38:39]
	v_dual_mov_b32 v165, 0 :: v_dual_lshlrev_b32 v114, 3, v102
	v_mul_lo_u32 v150, v37, v39
	v_mul_lo_u32 v151, v37, v174
	;; [unrolled: 1-line block ×8, first 2 shown]
	v_mad_co_u64_u32 v[99:100], null, s8, v100, v[38:39]
	v_mov_b32_e32 v100, v165
	v_mad_co_u64_u32 v[166:167], null, s8, v166, v[38:39]
	v_mov_b32_e32 v167, v165
	s_clause 0x3
	global_load_b128 v[102:105], v114, s[10:11] offset:176
	global_load_b128 v[106:109], v114, s[10:11] offset:192
	;; [unrolled: 1-line block ×3, first 2 shown]
	global_load_b64 v[114:115], v114, s[10:11] offset:224
	v_lshrrev_b32_e32 v126, 5, v152
	v_and_b32_e32 v116, 0xff, v150
	v_and_b32_e32 v118, 0xff, v151
	v_lshrrev_b32_e32 v117, 5, v150
	v_lshrrev_b32_e32 v119, 5, v151
	v_and_b32_e32 v130, 0x7f8, v126
	v_and_b32_e32 v126, 0xff, v148
	v_lshrrev_b32_e32 v127, 5, v148
	v_and_b32_e32 v121, 0xff, v152
	v_mad_co_u64_u32 v[168:169], null, s8, v168, v[38:39]
	v_mad_co_u64_u32 v[170:171], null, s8, v170, v[38:39]
	v_and_b32_e32 v128, 0xff, v153
	v_lshrrev_b32_e32 v129, 5, v153
	v_dual_mov_b32 v169, v165 :: v_dual_lshlrev_b32 v116, 3, v116
	v_dual_mov_b32 v171, v165 :: v_dual_lshlrev_b32 v122, 3, v118
	v_and_b32_e32 v120, 0x7f8, v117
	v_and_b32_e32 v123, 0x7f8, v119
	v_mad_co_u64_u32 v[172:173], null, s8, v172, v[38:39]
	v_mad_co_u64_u32 v[174:175], null, s8, v174, v[38:39]
	;; [unrolled: 1-line block ×3, first 2 shown]
	v_lshlrev_b32_e32 v132, 3, v128
	v_dual_mov_b32 v173, v165 :: v_dual_and_b32 v134, 0x7f8, v129
	v_mov_b32_e32 v175, v165
	s_clause 0x1
	global_load_b64 v[116:117], v116, s[0:1]
	global_load_b64 v[118:119], v120, s[0:1] offset:2048
	v_dual_mov_b32 v177, v165 :: v_dual_and_b32 v136, 0xff, v154
	v_lshrrev_b32_e32 v137, 5, v154
	v_lshrrev_b32_e32 v141, 5, v155
	v_lshrrev_b32_e32 v143, 5, v37
	v_lshrrev_b32_e32 v157, 13, v153
	v_lshrrev_b32_e32 v148, 13, v148
	v_and_b32_e32 v138, 0x7f8, v137
	v_lshrrev_b32_e32 v150, 13, v150
	v_lshrrev_b32_e32 v152, 13, v152
	v_lshrrev_b32_e32 v156, 13, v151
	v_lshrrev_b32_e32 v158, 13, v154
	v_lshrrev_b32_e32 v159, 13, v155
	v_lshlrev_b64_e32 v[164:165], 3, v[164:165]
	v_lshlrev_b64_e32 v[99:100], 3, v[99:100]
	v_and_b32_e32 v156, 0x7f8, v156
	v_lshlrev_b64_e32 v[166:167], 3, v[166:167]
	v_lshlrev_b64_e32 v[168:169], 3, v[168:169]
	;; [unrolled: 1-line block ×6, first 2 shown]
	s_wait_loadcnt_dscnt 0x501
	v_dual_mul_f32 v181, v105, v95 :: v_dual_lshlrev_b32 v126, 3, v126
	s_wait_loadcnt 0x4
	v_dual_mul_f32 v178, v107, v29 :: v_dual_and_b32 v131, 0x7f8, v127
	s_wait_loadcnt 0x3
	v_dual_mul_f32 v39, v111, v34 :: v_dual_lshlrev_b32 v124, 3, v121
	v_mul_f32_e32 v182, v113, v36
	s_clause 0x2
	global_load_b64 v[120:121], v122, s[0:1]
	global_load_b64 v[122:123], v123, s[0:1] offset:2048
	global_load_b64 v[124:125], v124, s[0:1]
	v_dual_mul_f32 v111, v111, v33 :: v_dual_fmac_f32 v178, v106, v30
	s_clause 0x1
	global_load_b64 v[126:127], v126, s[0:1]
	global_load_b64 v[128:129], v131, s[0:1] offset:2048
	s_wait_loadcnt_dscnt 0x700
	v_dual_mul_f32 v179, v115, v96 :: v_dual_and_b32 v142, 0xff, v37
	v_dual_fmac_f32 v111, v110, v34 :: v_dual_and_b32 v140, 0xff, v155
	s_delay_alu instid0(VALU_DEP_2) | instskip(SKIP_2) | instid1(VALU_DEP_4)
	v_dual_mul_f32 v180, v109, v31 :: v_dual_lshlrev_b32 v145, 3, v142
	v_mul_f32_e32 v105, v105, v94
	v_dual_mul_f32 v113, v113, v35 :: v_dual_lshlrev_b32 v136, 3, v136
	v_dual_fmac_f32 v179, v114, v97 :: v_dual_lshlrev_b32 v140, 3, v140
	s_delay_alu instid0(VALU_DEP_3) | instskip(NEXT) | instid1(VALU_DEP_3)
	v_dual_fmac_f32 v105, v104, v95 :: v_dual_and_b32 v144, 0x7f8, v141
	v_dual_fmac_f32 v113, v112, v36 :: v_dual_and_b32 v146, 0x7f8, v143
	;; [unrolled: 1-line block ×3, first 2 shown]
	v_mul_f32_e32 v107, v107, v30
	v_mul_f32_e32 v109, v109, v32
	s_clause 0x4
	global_load_b64 v[130:131], v130, s[0:1] offset:2048
	global_load_b64 v[132:133], v132, s[0:1]
	global_load_b64 v[134:135], v134, s[0:1] offset:2048
	global_load_b64 v[136:137], v136, s[0:1]
	global_load_b64 v[138:139], v138, s[0:1] offset:2048
	v_fma_f32 v32, v112, v35, -v182
	v_and_b32_e32 v150, 0x7f8, v150
	v_and_b32_e32 v152, 0x7f8, v152
	v_fma_f32 v33, v110, v33, -v39
	v_and_b32_e32 v148, 0x7f8, v148
	v_lshrrev_b32_e32 v37, 13, v37
	v_fma_f32 v31, v108, v31, -v109
	v_and_b32_e32 v158, 0x7f8, v158
	v_dual_sub_f32 v36, v178, v179 :: v_dual_mul_f32 v115, v115, v97
	s_delay_alu instid0(VALU_DEP_4) | instskip(NEXT) | instid1(VALU_DEP_4)
	v_and_b32_e32 v37, 0x7f8, v37
	v_sub_f32_e32 v31, v21, v31
	v_fma_f32 v30, v104, v94, -v181
	s_wait_loadcnt 0xa
	v_mul_f32_e32 v95, v117, v119
	s_delay_alu instid0(VALU_DEP_3)
	v_fma_f32 v21, v21, 2.0, -v31
	s_wait_loadcnt 0x8
	v_dual_sub_f32 v32, v30, v32 :: v_dual_mul_f32 v97, v121, v123
	s_wait_loadcnt 0x5
	v_mul_f32_e32 v35, v126, v129
	s_clause 0x8
	global_load_b64 v[140:141], v140, s[0:1]
	global_load_b64 v[142:143], v144, s[0:1] offset:2048
	global_load_b64 v[144:145], v145, s[0:1]
	global_load_b64 v[146:147], v146, s[0:1] offset:2048
	global_load_b64 v[148:149], v148, s[0:1] offset:4096
	global_load_b64 v[150:151], v150, s[0:1] offset:4096
	global_load_b64 v[152:153], v152, s[0:1] offset:4096
	global_load_b64 v[154:155], v156, s[0:1] offset:4096
	global_load_b64 v[156:157], v157, s[0:1] offset:4096
	v_dual_fmac_f32 v35, v127, v128 :: v_dual_and_b32 v160, 0x7f8, v159
	s_clause 0x2
	global_load_b64 v[158:159], v158, s[0:1] offset:4096
	global_load_b64 v[160:161], v160, s[0:1] offset:4096
	;; [unrolled: 1-line block ×3, first 2 shown]
	v_mul_f32_e32 v37, v103, v24
	v_mul_f32_e32 v103, v103, v23
	;; [unrolled: 1-line block ×3, first 2 shown]
	v_add_co_u32 v164, s0, s4, v164
	s_delay_alu instid0(VALU_DEP_4) | instskip(NEXT) | instid1(VALU_DEP_4)
	v_fma_f32 v23, v102, v23, -v37
	v_fmac_f32_e32 v103, v102, v24
	v_fma_f32 v24, v106, v29, -v107
	v_fma_f32 v29, v114, v96, -v115
	v_sub_f32_e32 v37, v22, v180
	v_sub_f32_e32 v33, v23, v33
	;; [unrolled: 1-line block ×3, first 2 shown]
	v_mul_f32_e32 v96, v116, v119
	v_sub_f32_e32 v29, v24, v29
	v_dual_mul_f32 v102, v120, v123 :: v_dual_add_f32 v119, v37, v32
	s_wait_loadcnt 0x10
	v_mul_f32_e32 v104, v125, v131
	v_sub_f32_e32 v115, v33, v36
	v_add_f32_e32 v123, v39, v29
	v_sub_f32_e32 v94, v105, v113
	v_fma_f32 v22, v22, 2.0, -v37
	v_fma_f32 v34, v126, v128, -v34
	v_fma_f32 v24, v24, 2.0, -v29
	v_fma_f32 v29, v30, 2.0, -v32
	;; [unrolled: 1-line block ×3, first 2 shown]
	v_fma_f32 v36, v116, v118, -v95
	v_fma_f32 v95, v120, v122, -v97
	;; [unrolled: 1-line block ×3, first 2 shown]
	s_wait_loadcnt 0xe
	v_mul_f32_e32 v108, v132, v135
	s_wait_loadcnt 0xc
	v_dual_mul_f32 v110, v136, v139 :: v_dual_sub_f32 v29, v21, v29
	v_fma_f32 v23, v23, 2.0, -v33
	v_fma_f32 v30, v103, 2.0, -v39
	;; [unrolled: 1-line block ×3, first 2 shown]
	v_mul_f32_e32 v106, v124, v131
	v_fmac_f32_e32 v96, v117, v118
	v_fmac_f32_e32 v102, v121, v122
	v_fma_f32 v37, v37, 2.0, -v119
	v_fma_f32 v39, v39, 2.0, -v123
	;; [unrolled: 1-line block ×3, first 2 shown]
	v_add_co_ci_u32_e64 v165, s0, s5, v165, s0
	v_add_co_u32 v99, s0, s4, v99
	s_wait_alu 0xf1ff
	v_add_co_ci_u32_e64 v100, s0, s5, v100, s0
	v_add_co_u32 v166, s0, s4, v166
	s_wait_alu 0xf1ff
	;; [unrolled: 3-line block ×7, first 2 shown]
	v_add_co_ci_u32_e64 v177, s0, s5, v177, s0
	s_wait_loadcnt 0xa
	v_mul_f32_e32 v111, v141, v143
	s_wait_loadcnt 0x8
	v_mul_f32_e32 v113, v145, v147
	v_mul_f32_e32 v114, v144, v147
	v_mul_f32_e32 v109, v137, v139
	s_wait_loadcnt 0x4
	v_mul_f32_e32 v121, v95, v155
	s_delay_alu instid0(VALU_DEP_3) | instskip(NEXT) | instid1(VALU_DEP_3)
	v_dual_mul_f32 v117, v96, v151 :: v_dual_fmac_f32 v114, v146, v145
	v_fma_f32 v104, v136, v138, -v109
	v_fma_f32 v109, v140, v142, -v111
	;; [unrolled: 1-line block ×3, first 2 shown]
	v_fmamk_f32 v113, v123, 0x3f3504f3, v119
	v_dual_mul_f32 v107, v133, v135 :: v_dual_sub_f32 v126, v31, v94
	v_fma_f32 v94, v105, 2.0, -v94
	v_mul_f32_e32 v105, v35, v149
	s_delay_alu instid0(VALU_DEP_4) | instskip(NEXT) | instid1(VALU_DEP_4)
	v_dual_sub_f32 v24, v23, v24 :: v_dual_fmac_f32 v113, 0x3f3504f3, v115
	v_fma_f32 v103, v132, v134, -v107
	v_mul_f32_e32 v112, v140, v143
	v_fma_f32 v31, v31, 2.0, -v126
	v_dual_mul_f32 v107, v34, v149 :: v_dual_fmac_f32 v108, v133, v134
	s_wait_loadcnt 0x2
	v_dual_mul_f32 v129, v104, v159 :: v_dual_fmac_f32 v110, v137, v138
	s_delay_alu instid0(VALU_DEP_2) | instskip(SKIP_3) | instid1(VALU_DEP_3)
	v_dual_fmamk_f32 v116, v115, 0x3f3504f3, v126 :: v_dual_fmac_f32 v107, v148, v35
	v_sub_f32_e32 v94, v22, v94
	v_dual_sub_f32 v32, v30, v32 :: v_dual_fmamk_f32 v133, v33, 0xbf3504f3, v31
	v_dual_mul_f32 v118, v36, v151 :: v_dual_mul_f32 v127, v103, v157
	v_dual_add_f32 v115, v94, v24 :: v_dual_fmac_f32 v112, v141, v142
	s_wait_loadcnt 0x0
	v_dual_mul_f32 v131, v163, v111 :: v_dual_fmac_f32 v106, v125, v130
	v_dual_mul_f32 v125, v108, v157 :: v_dual_mul_f32 v120, v102, v155
	v_dual_mul_f32 v124, v97, v153 :: v_dual_fmac_f32 v121, v154, v102
	v_fma_f32 v105, v148, v34, -v105
	v_dual_mul_f32 v34, v112, v161 :: v_dual_fmac_f32 v129, v158, v110
	v_dual_mul_f32 v35, v109, v161 :: v_dual_mul_f32 v128, v110, v159
	v_dual_mul_f32 v130, v163, v114 :: v_dual_fmac_f32 v133, 0xbf3504f3, v39
	v_dual_fmac_f32 v116, 0xbf3504f3, v123 :: v_dual_fmac_f32 v131, v162, v114
	v_sub_f32_e32 v123, v29, v32
	v_fma_f32 v134, v22, 2.0, -v94
	v_fma_f32 v22, v30, 2.0, -v32
	v_fmamk_f32 v132, v39, 0xbf3504f3, v37
	v_fma_f32 v23, v23, 2.0, -v24
	v_fmac_f32_e32 v118, v150, v96
	v_dual_mul_f32 v122, v106, v153 :: v_dual_fmac_f32 v127, v156, v108
	v_fma_f32 v117, v150, v36, -v117
	v_fma_f32 v95, v154, v95, -v120
	v_fmac_f32_e32 v124, v152, v106
	v_fma_f32 v102, v156, v103, -v125
	v_fmac_f32_e32 v35, v160, v112
	v_fma_f32 v103, v158, v104, -v128
	v_fma_f32 v104, v160, v109, -v34
	v_dual_fmac_f32 v132, 0x3f3504f3, v33 :: v_dual_sub_f32 v33, v134, v22
	v_sub_f32_e32 v39, v21, v23
	v_mul_f32_e32 v23, v113, v118
	v_fma_f32 v108, v126, 2.0, -v116
	v_fma_f32 v94, v94, 2.0, -v115
	;; [unrolled: 1-line block ×3, first 2 shown]
	v_mul_f32_e32 v24, v123, v121
	v_mul_f32_e32 v29, v115, v121
	v_fma_f32 v31, v31, 2.0, -v133
	v_fma_f32 v96, v152, v97, -v122
	v_fma_f32 v97, v119, 2.0, -v113
	v_mul_f32_e32 v22, v116, v118
	v_mul_f32_e32 v30, v133, v124
	;; [unrolled: 1-line block ×4, first 2 shown]
	v_fma_f32 v37, v37, 2.0, -v132
	v_fma_f32 v114, v134, 2.0, -v33
	v_mul_f32_e32 v34, v108, v129
	v_fma_f32 v118, v21, 2.0, -v39
	v_fma_f32 v21, v116, v117, -v23
	v_fmac_f32_e32 v24, v115, v95
	v_fma_f32 v23, v123, v95, -v29
	v_mul_f32_e32 v95, v31, v35
	v_mul_f32_e32 v32, v39, v127
	v_fma_f32 v106, v162, v111, -v130
	v_dual_mul_f32 v110, v132, v124 :: v_dual_mul_f32 v111, v33, v127
	v_mul_f32_e32 v112, v97, v129
	v_fmac_f32_e32 v95, v37, v104
	v_dual_fmac_f32 v32, v33, v102 :: v_dual_mul_f32 v33, v114, v131
	v_fmac_f32_e32 v34, v97, v103
	v_dual_mul_f32 v97, v118, v131 :: v_dual_fmac_f32 v30, v132, v96
	v_mul_f32_e32 v35, v37, v35
	v_fma_f32 v29, v133, v96, -v110
	v_fma_f32 v96, v118, v106, -v33
	s_delay_alu instid0(VALU_DEP_4)
	v_fmac_f32_e32 v97, v114, v106
	v_fmac_f32_e32 v36, v94, v105
	v_fma_f32 v94, v31, v104, -v35
	v_fma_f32 v35, v109, v105, -v107
	;; [unrolled: 1-line block ×4, first 2 shown]
	v_fmac_f32_e32 v22, v113, v117
	s_clause 0x7
	global_store_b64 v[164:165], v[96:97], off
	global_store_b64 v[166:167], v[94:95], off
	;; [unrolled: 1-line block ×8, first 2 shown]
.LBB0_30:
	s_wait_alu 0xfffe
	s_or_b32 exec_lo, exec_lo, s2
	v_cmp_gt_u32_e64 s1, 0x80, v0
	v_cmp_lt_u32_e64 s0, 0x7f, v0
	s_wait_dscnt 0x4
	v_cndmask_b32_e64 v21, 0, 1, vcc_lo
	s_wait_alu 0xf1ff
	v_cndmask_b32_e64 v0, 0, 1, s1
	s_or_b32 vcc_lo, s0, s9
	s_mov_b32 s0, exec_lo
	s_wait_alu 0xfffe
	s_delay_alu instid0(VALU_DEP_1) | instskip(NEXT) | instid1(VALU_DEP_1)
	v_cndmask_b32_e32 v0, v21, v0, vcc_lo
	v_and_b32_e32 v0, 1, v0
	s_delay_alu instid0(VALU_DEP_1)
	v_cmpx_eq_u32_e32 1, v0
	s_cbranch_execz .LBB0_32
; %bb.31:
	s_wait_loadcnt 0x18
	v_dual_mul_f32 v0, v2, v26 :: v_dual_mul_f32 v23, v3, v28
	v_dual_mul_f32 v21, v1, v26 :: v_dual_mul_f32 v22, v4, v28
	s_wait_dscnt 0x3
	v_mul_f32_e32 v24, v6, v18
	s_delay_alu instid0(VALU_DEP_3)
	v_fma_f32 v0, v1, v25, -v0
	v_fmac_f32_e32 v23, v4, v27
	v_dual_fmac_f32 v21, v2, v25 :: v_dual_mul_f32 v2, v5, v18
	v_fma_f32 v1, v3, v27, -v22
	v_fma_f32 v3, v5, v17, -v24
	s_wait_dscnt 0x2
	v_dual_mul_f32 v5, v7, v20 :: v_dual_mul_f32 v18, v10, v14
	v_fmac_f32_e32 v2, v6, v17
	v_mul_f32_e32 v6, v9, v14
	s_wait_loadcnt 0xd
	s_delay_alu instid0(VALU_DEP_3) | instskip(SKIP_2) | instid1(VALU_DEP_2)
	v_dual_mul_f32 v22, v74, v77 :: v_dual_fmac_f32 v5, v8, v19
	v_mul_f32_e32 v4, v8, v20
	s_wait_dscnt 0x1
	v_dual_fmac_f32 v22, v75, v76 :: v_dual_sub_f32 v5, v41, v5
	s_delay_alu instid0(VALU_DEP_2) | instskip(SKIP_3) | instid1(VALU_DEP_2)
	v_fma_f32 v4, v7, v19, -v4
	v_fma_f32 v7, v9, v13, -v18
	v_dual_mul_f32 v9, v11, v16 :: v_dual_fmac_f32 v6, v10, v13
	s_wait_dscnt 0x0
	v_dual_mul_f32 v10, v69, v93 :: v_dual_sub_f32 v7, v0, v7
	s_delay_alu instid0(VALU_DEP_2) | instskip(SKIP_1) | instid1(VALU_DEP_3)
	v_fmac_f32_e32 v9, v12, v15
	v_mul_f32_e32 v8, v12, v16
	v_fma_f32 v10, v68, v92, -v10
	v_fma_f32 v12, v41, 2.0, -v5
	v_fma_f32 v0, v0, 2.0, -v7
	v_sub_f32_e32 v9, v23, v9
	v_fma_f32 v8, v11, v15, -v8
	v_dual_mul_f32 v13, v68, v93 :: v_dual_sub_f32 v10, v3, v10
	s_delay_alu instid0(VALU_DEP_3) | instskip(NEXT) | instid1(VALU_DEP_3)
	v_fma_f32 v14, v23, 2.0, -v9
	v_sub_f32_e32 v8, v1, v8
	s_delay_alu instid0(VALU_DEP_3) | instskip(SKIP_2) | instid1(VALU_DEP_4)
	v_fmac_f32_e32 v13, v69, v92
	v_sub_f32_e32 v4, v40, v4
	v_fma_f32 v3, v3, 2.0, -v10
	v_fma_f32 v1, v1, 2.0, -v8
	s_delay_alu instid0(VALU_DEP_4) | instskip(NEXT) | instid1(VALU_DEP_4)
	v_sub_f32_e32 v13, v2, v13
	v_fma_f32 v11, v40, 2.0, -v4
	v_sub_f32_e32 v6, v21, v6
	v_sub_f32_e32 v14, v12, v14
	v_dual_sub_f32 v9, v4, v9 :: v_dual_add_f32 v8, v5, v8
	s_delay_alu instid0(VALU_DEP_4) | instskip(NEXT) | instid1(VALU_DEP_4)
	v_sub_f32_e32 v1, v11, v1
	v_fma_f32 v15, v21, 2.0, -v6
	v_fma_f32 v2, v2, 2.0, -v13
	v_sub_f32_e32 v13, v7, v13
	v_fma_f32 v12, v12, 2.0, -v14
	v_fma_f32 v4, v4, 2.0, -v9
	v_dual_sub_f32 v3, v0, v3 :: v_dual_add_f32 v10, v6, v10
	v_sub_f32_e32 v2, v15, v2
	v_fma_f32 v7, v7, 2.0, -v13
	v_fma_f32 v11, v11, 2.0, -v1
	;; [unrolled: 1-line block ×6, first 2 shown]
	v_dual_fmamk_f32 v16, v7, 0xbf3504f3, v4 :: v_dual_add_f32 v19, v14, v3
	s_delay_alu instid0(VALU_DEP_4) | instskip(NEXT) | instid1(VALU_DEP_3)
	v_sub_f32_e32 v17, v11, v0
	v_dual_sub_f32 v15, v12, v15 :: v_dual_fmamk_f32 v18, v6, 0xbf3504f3, v5
	s_delay_alu instid0(VALU_DEP_3) | instskip(NEXT) | instid1(VALU_DEP_3)
	v_fmac_f32_e32 v16, 0xbf3504f3, v6
	v_fma_f32 v0, v11, 2.0, -v17
	s_delay_alu instid0(VALU_DEP_3) | instskip(SKIP_4) | instid1(VALU_DEP_3)
	v_fma_f32 v6, v12, 2.0, -v15
	v_sub_f32_e32 v12, v1, v2
	v_mul_f32_e32 v2, v89, v91
	v_fmac_f32_e32 v18, 0x3f3504f3, v7
	v_fma_f32 v11, v14, 2.0, -v19
	v_fma_f32 v2, v88, v90, -v2
	s_delay_alu instid0(VALU_DEP_1) | instskip(SKIP_3) | instid1(VALU_DEP_2)
	v_mul_f32_e32 v3, v2, v87
	v_fma_f32 v7, v1, 2.0, -v12
	v_mul_f32_e32 v1, v88, v91
	v_fma_f32 v4, v4, 2.0, -v16
	v_dual_fmac_f32 v1, v89, v90 :: v_dual_fmamk_f32 v24, v10, 0x3f3504f3, v8
	v_fma_f32 v5, v5, 2.0, -v18
	s_delay_alu instid0(VALU_DEP_2) | instskip(SKIP_1) | instid1(VALU_DEP_4)
	v_fmac_f32_e32 v3, v86, v1
	v_fmamk_f32 v20, v13, 0x3f3504f3, v9
	v_dual_fmac_f32 v24, 0x3f3504f3, v13 :: v_dual_mul_f32 v13, v1, v87
	s_delay_alu instid0(VALU_DEP_3) | instskip(NEXT) | instid1(VALU_DEP_2)
	v_mul_f32_e32 v1, v0, v3
	v_fma_f32 v8, v8, 2.0, -v24
	s_delay_alu instid0(VALU_DEP_3) | instskip(SKIP_2) | instid1(VALU_DEP_3)
	v_fma_f32 v2, v86, v2, -v13
	v_dual_mul_f32 v13, v6, v3 :: v_dual_fmac_f32 v20, 0xbf3504f3, v10
	v_mul_f32_e32 v3, v59, v61
	v_fmac_f32_e32 v1, v6, v2
	v_mul_f32_e32 v6, v58, v61
	s_delay_alu instid0(VALU_DEP_4) | instskip(NEXT) | instid1(VALU_DEP_2)
	v_fma_f32 v0, v0, v2, -v13
	v_fmac_f32_e32 v6, v59, v60
	v_mul_f32_e32 v14, v82, v85
	s_delay_alu instid0(VALU_DEP_1) | instskip(NEXT) | instid1(VALU_DEP_1)
	v_dual_mul_f32 v25, v6, v65 :: v_dual_fmac_f32 v14, v83, v84
	v_dual_mul_f32 v10, v83, v85 :: v_dual_mul_f32 v13, v14, v79
	s_delay_alu instid0(VALU_DEP_1) | instskip(NEXT) | instid1(VALU_DEP_1)
	v_fma_f32 v10, v82, v84, -v10
	v_mul_f32_e32 v21, v10, v79
	s_delay_alu instid0(VALU_DEP_3) | instskip(SKIP_1) | instid1(VALU_DEP_3)
	v_fma_f32 v10, v78, v10, -v13
	v_fma_f32 v9, v9, 2.0, -v20
	v_fmac_f32_e32 v21, v78, v14
	v_fma_f32 v14, v58, v60, -v3
	v_mul_f32_e32 v3, v75, v77
	s_delay_alu instid0(VALU_DEP_3) | instskip(NEXT) | instid1(VALU_DEP_3)
	v_mul_f32_e32 v2, v5, v21
	v_mul_f32_e32 v13, v14, v65
	s_delay_alu instid0(VALU_DEP_3) | instskip(SKIP_1) | instid1(VALU_DEP_4)
	v_fma_f32 v23, v74, v76, -v3
	v_mul_f32_e32 v3, v4, v21
	v_fma_f32 v2, v4, v10, -v2
	s_delay_alu instid0(VALU_DEP_4) | instskip(SKIP_3) | instid1(VALU_DEP_3)
	v_fmac_f32_e32 v13, v64, v6
	s_wait_loadcnt 0xc
	v_mul_f32_e32 v21, v23, v57
	v_fma_f32 v6, v64, v14, -v25
	v_dual_fmac_f32 v3, v5, v10 :: v_dual_mul_f32 v4, v11, v13
	s_delay_alu instid0(VALU_DEP_3) | instskip(SKIP_2) | instid1(VALU_DEP_4)
	v_fmac_f32_e32 v21, v56, v22
	v_mul_f32_e32 v5, v7, v13
	v_mul_f32_e32 v14, v22, v57
	v_fma_f32 v4, v7, v6, -v4
	s_delay_alu instid0(VALU_DEP_4) | instskip(NEXT) | instid1(VALU_DEP_4)
	v_mul_f32_e32 v13, v8, v21
	v_fmac_f32_e32 v5, v11, v6
	s_delay_alu instid0(VALU_DEP_4)
	v_fma_f32 v10, v56, v23, -v14
	s_wait_loadcnt 0xa
	v_mul_f32_e32 v7, v67, v71
	s_wait_loadcnt 0x7
	v_dual_mul_f32 v11, v66, v71 :: v_dual_mul_f32 v14, v63, v81
	v_fma_f32 v6, v9, v10, -v13
	v_mul_f32_e32 v13, v62, v81
	v_fma_f32 v22, v66, v70, -v7
	s_delay_alu instid0(VALU_DEP_4) | instskip(SKIP_1) | instid1(VALU_DEP_4)
	v_fma_f32 v14, v62, v80, -v14
	v_mul_f32_e32 v7, v9, v21
	v_fmac_f32_e32 v13, v63, v80
	v_fmac_f32_e32 v11, v67, v70
	s_wait_loadcnt 0x6
	v_mul_f32_e32 v21, v14, v73
	v_fmac_f32_e32 v7, v8, v10
	v_dual_mul_f32 v23, v22, v55 :: v_dual_mul_f32 v8, v13, v73
	s_delay_alu instid0(VALU_DEP_3) | instskip(NEXT) | instid1(VALU_DEP_2)
	v_fmac_f32_e32 v21, v72, v13
	v_fma_f32 v13, v72, v14, -v8
	s_wait_loadcnt 0x4
	s_delay_alu instid0(VALU_DEP_3) | instskip(NEXT) | instid1(VALU_DEP_1)
	v_dual_mul_f32 v14, v51, v53 :: v_dual_fmac_f32 v23, v54, v11
	v_fma_f32 v14, v50, v52, -v14
	v_mul_f32_e32 v9, v11, v55
	s_delay_alu instid0(VALU_DEP_3) | instskip(NEXT) | instid1(VALU_DEP_2)
	v_mul_f32_e32 v11, v15, v23
	v_fma_f32 v10, v54, v22, -v9
	v_dual_mul_f32 v9, v17, v23 :: v_dual_mul_f32 v22, v18, v21
	s_delay_alu instid0(VALU_DEP_2) | instskip(SKIP_1) | instid1(VALU_DEP_3)
	v_fma_f32 v8, v17, v10, -v11
	v_mul_f32_e32 v17, v50, v53
	v_fmac_f32_e32 v9, v15, v10
	s_wait_loadcnt 0x1
	v_mul_f32_e32 v15, v47, v49
	v_mul_f32_e32 v11, v16, v21
	v_fma_f32 v10, v16, v13, -v22
	v_dual_fmac_f32 v17, v51, v52 :: v_dual_mul_f32 v16, v14, v45
	v_mul_f32_e32 v21, v46, v49
	v_fma_f32 v15, v46, v48, -v15
	v_fmac_f32_e32 v11, v18, v13
	v_and_b32_e32 v18, 0xffff, v101
	v_mul_f32_e32 v22, v17, v45
	v_dual_fmac_f32 v16, v44, v17 :: v_dual_fmac_f32 v21, v47, v48
	s_wait_loadcnt 0x0
	v_mul_f32_e32 v17, v15, v43
	v_mad_u32_u24 v26, 0xa8, v18, v98
	v_fma_f32 v14, v44, v14, -v22
	v_dual_mul_f32 v22, v19, v16 :: v_dual_mul_f32 v23, v21, v43
	v_mul_f32_e32 v13, v12, v16
	s_delay_alu instid0(VALU_DEP_4) | instskip(NEXT) | instid1(VALU_DEP_3)
	v_dual_fmac_f32 v17, v42, v21 :: v_dual_add_nc_u32 v18, 24, v26
	v_fma_f32 v12, v12, v14, -v22
	s_delay_alu instid0(VALU_DEP_4) | instskip(NEXT) | instid1(VALU_DEP_3)
	v_fma_f32 v25, v42, v15, -v23
	v_dual_fmac_f32 v13, v19, v14 :: v_dual_mul_f32 v16, v24, v17
	v_mad_co_u64_u32 v[14:15], null, s8, v26, v[38:39]
	v_dual_mov_b32 v15, 0 :: v_dual_add_nc_u32 v22, 48, v26
	v_mad_co_u64_u32 v[18:19], null, s8, v18, v[38:39]
	s_delay_alu instid0(VALU_DEP_4) | instskip(NEXT) | instid1(VALU_DEP_3)
	v_fma_f32 v16, v20, v25, -v16
	v_mov_b32_e32 v19, v15
	s_delay_alu instid0(VALU_DEP_4) | instskip(SKIP_4) | instid1(VALU_DEP_4)
	v_mad_co_u64_u32 v[22:23], null, s8, v22, v[38:39]
	v_mul_f32_e32 v17, v20, v17
	v_lshlrev_b64_e32 v[20:21], 3, v[14:15]
	v_mov_b32_e32 v23, v15
	v_lshlrev_b64_e32 v[18:19], 3, v[18:19]
	v_dual_fmac_f32 v17, v24, v25 :: v_dual_add_nc_u32 v14, 0x48, v26
	s_delay_alu instid0(VALU_DEP_4) | instskip(NEXT) | instid1(VALU_DEP_4)
	v_add_co_u32 v20, vcc_lo, s4, v20
	v_lshlrev_b64_e32 v[22:23], 3, v[22:23]
	s_wait_alu 0xfffd
	v_add_co_ci_u32_e32 v21, vcc_lo, s5, v21, vcc_lo
	v_add_co_u32 v18, vcc_lo, s4, v18
	s_wait_alu 0xfffd
	v_add_co_ci_u32_e32 v19, vcc_lo, s5, v19, vcc_lo
	v_add_co_u32 v22, vcc_lo, s4, v22
	s_wait_alu 0xfffd
	v_add_co_ci_u32_e32 v23, vcc_lo, s5, v23, vcc_lo
	s_clause 0x1
	global_store_b64 v[20:21], v[0:1], off
	global_store_b64 v[18:19], v[2:3], off
	v_add_nc_u32_e32 v2, 0x60, v26
	v_mad_co_u64_u32 v[24:25], null, s8, v14, v[38:39]
	global_store_b64 v[22:23], v[4:5], off
	v_dual_mov_b32 v25, v15 :: v_dual_add_nc_u32 v4, 0x78, v26
	v_mad_co_u64_u32 v[2:3], null, s8, v2, v[38:39]
	v_dual_mov_b32 v3, v15 :: v_dual_add_nc_u32 v14, 0x90, v26
	s_delay_alu instid0(VALU_DEP_3)
	v_mad_co_u64_u32 v[4:5], null, s8, v4, v[38:39]
	v_add_nc_u32_e32 v20, 0xa8, v26
	v_lshlrev_b64_e32 v[0:1], 3, v[24:25]
	v_mov_b32_e32 v5, v15
	v_mad_co_u64_u32 v[18:19], null, s8, v14, v[38:39]
	v_lshlrev_b64_e32 v[2:3], 3, v[2:3]
	v_mov_b32_e32 v19, v15
	v_mad_co_u64_u32 v[20:21], null, s8, v20, v[38:39]
	v_add_co_u32 v0, vcc_lo, s4, v0
	v_lshlrev_b64_e32 v[4:5], 3, v[4:5]
	v_mov_b32_e32 v21, v15
	s_wait_alu 0xfffd
	v_add_co_ci_u32_e32 v1, vcc_lo, s5, v1, vcc_lo
	v_add_co_u32 v2, vcc_lo, s4, v2
	v_lshlrev_b64_e32 v[18:19], 3, v[18:19]
	s_wait_alu 0xfffd
	v_add_co_ci_u32_e32 v3, vcc_lo, s5, v3, vcc_lo
	v_add_co_u32 v4, vcc_lo, s4, v4
	v_lshlrev_b64_e32 v[14:15], 3, v[20:21]
	s_wait_alu 0xfffd
	v_add_co_ci_u32_e32 v5, vcc_lo, s5, v5, vcc_lo
	v_add_co_u32 v18, vcc_lo, s4, v18
	s_wait_alu 0xfffd
	v_add_co_ci_u32_e32 v19, vcc_lo, s5, v19, vcc_lo
	v_add_co_u32 v14, vcc_lo, s4, v14
	s_wait_alu 0xfffd
	v_add_co_ci_u32_e32 v15, vcc_lo, s5, v15, vcc_lo
	s_clause 0x4
	global_store_b64 v[0:1], v[6:7], off
	global_store_b64 v[2:3], v[8:9], off
	global_store_b64 v[4:5], v[10:11], off
	global_store_b64 v[18:19], v[12:13], off
	global_store_b64 v[14:15], v[16:17], off
.LBB0_32:
	s_nop 0
	s_sendmsg sendmsg(MSG_DEALLOC_VGPRS)
	s_endpgm
	.section	.rodata,"a",@progbits
	.p2align	6, 0x0
	.amdhsa_kernel fft_rtc_fwd_len192_factors_2_2_6_8_wgs_256_tpt_16_dim2_sp_ip_CI_sbcc_twdbase8_3step_dirReg_intrinsicReadWrite
		.amdhsa_group_segment_fixed_size 0
		.amdhsa_private_segment_fixed_size 0
		.amdhsa_kernarg_size 88
		.amdhsa_user_sgpr_count 2
		.amdhsa_user_sgpr_dispatch_ptr 0
		.amdhsa_user_sgpr_queue_ptr 0
		.amdhsa_user_sgpr_kernarg_segment_ptr 1
		.amdhsa_user_sgpr_dispatch_id 0
		.amdhsa_user_sgpr_private_segment_size 0
		.amdhsa_wavefront_size32 1
		.amdhsa_uses_dynamic_stack 0
		.amdhsa_enable_private_segment 0
		.amdhsa_system_sgpr_workgroup_id_x 1
		.amdhsa_system_sgpr_workgroup_id_y 0
		.amdhsa_system_sgpr_workgroup_id_z 0
		.amdhsa_system_sgpr_workgroup_info 0
		.amdhsa_system_vgpr_workitem_id 0
		.amdhsa_next_free_vgpr 183
		.amdhsa_next_free_sgpr 20
		.amdhsa_reserve_vcc 1
		.amdhsa_float_round_mode_32 0
		.amdhsa_float_round_mode_16_64 0
		.amdhsa_float_denorm_mode_32 3
		.amdhsa_float_denorm_mode_16_64 3
		.amdhsa_fp16_overflow 0
		.amdhsa_workgroup_processor_mode 1
		.amdhsa_memory_ordered 1
		.amdhsa_forward_progress 0
		.amdhsa_round_robin_scheduling 0
		.amdhsa_exception_fp_ieee_invalid_op 0
		.amdhsa_exception_fp_denorm_src 0
		.amdhsa_exception_fp_ieee_div_zero 0
		.amdhsa_exception_fp_ieee_overflow 0
		.amdhsa_exception_fp_ieee_underflow 0
		.amdhsa_exception_fp_ieee_inexact 0
		.amdhsa_exception_int_div_zero 0
	.end_amdhsa_kernel
	.text
.Lfunc_end0:
	.size	fft_rtc_fwd_len192_factors_2_2_6_8_wgs_256_tpt_16_dim2_sp_ip_CI_sbcc_twdbase8_3step_dirReg_intrinsicReadWrite, .Lfunc_end0-fft_rtc_fwd_len192_factors_2_2_6_8_wgs_256_tpt_16_dim2_sp_ip_CI_sbcc_twdbase8_3step_dirReg_intrinsicReadWrite
                                        ; -- End function
	.section	.AMDGPU.csdata,"",@progbits
; Kernel info:
; codeLenInByte = 8324
; NumSgprs: 22
; NumVgprs: 183
; ScratchSize: 0
; MemoryBound: 0
; FloatMode: 240
; IeeeMode: 1
; LDSByteSize: 0 bytes/workgroup (compile time only)
; SGPRBlocks: 2
; VGPRBlocks: 22
; NumSGPRsForWavesPerEU: 22
; NumVGPRsForWavesPerEU: 183
; Occupancy: 8
; WaveLimiterHint : 1
; COMPUTE_PGM_RSRC2:SCRATCH_EN: 0
; COMPUTE_PGM_RSRC2:USER_SGPR: 2
; COMPUTE_PGM_RSRC2:TRAP_HANDLER: 0
; COMPUTE_PGM_RSRC2:TGID_X_EN: 1
; COMPUTE_PGM_RSRC2:TGID_Y_EN: 0
; COMPUTE_PGM_RSRC2:TGID_Z_EN: 0
; COMPUTE_PGM_RSRC2:TIDIG_COMP_CNT: 0
	.text
	.p2alignl 7, 3214868480
	.fill 96, 4, 3214868480
	.type	__hip_cuid_6312ba524fcd6de0,@object ; @__hip_cuid_6312ba524fcd6de0
	.section	.bss,"aw",@nobits
	.globl	__hip_cuid_6312ba524fcd6de0
__hip_cuid_6312ba524fcd6de0:
	.byte	0                               ; 0x0
	.size	__hip_cuid_6312ba524fcd6de0, 1

	.ident	"AMD clang version 19.0.0git (https://github.com/RadeonOpenCompute/llvm-project roc-6.4.0 25133 c7fe45cf4b819c5991fe208aaa96edf142730f1d)"
	.section	".note.GNU-stack","",@progbits
	.addrsig
	.addrsig_sym __hip_cuid_6312ba524fcd6de0
	.amdgpu_metadata
---
amdhsa.kernels:
  - .args:
      - .actual_access:  read_only
        .address_space:  global
        .offset:         0
        .size:           8
        .value_kind:     global_buffer
      - .address_space:  global
        .offset:         8
        .size:           8
        .value_kind:     global_buffer
      - .actual_access:  read_only
        .address_space:  global
        .offset:         16
        .size:           8
        .value_kind:     global_buffer
      - .actual_access:  read_only
        .address_space:  global
        .offset:         24
        .size:           8
        .value_kind:     global_buffer
      - .offset:         32
        .size:           8
        .value_kind:     by_value
      - .actual_access:  read_only
        .address_space:  global
        .offset:         40
        .size:           8
        .value_kind:     global_buffer
      - .actual_access:  read_only
        .address_space:  global
        .offset:         48
        .size:           8
        .value_kind:     global_buffer
      - .offset:         56
        .size:           4
        .value_kind:     by_value
      - .actual_access:  read_only
        .address_space:  global
        .offset:         64
        .size:           8
        .value_kind:     global_buffer
      - .actual_access:  read_only
        .address_space:  global
        .offset:         72
        .size:           8
        .value_kind:     global_buffer
      - .address_space:  global
        .offset:         80
        .size:           8
        .value_kind:     global_buffer
    .group_segment_fixed_size: 0
    .kernarg_segment_align: 8
    .kernarg_segment_size: 88
    .language:       OpenCL C
    .language_version:
      - 2
      - 0
    .max_flat_workgroup_size: 256
    .name:           fft_rtc_fwd_len192_factors_2_2_6_8_wgs_256_tpt_16_dim2_sp_ip_CI_sbcc_twdbase8_3step_dirReg_intrinsicReadWrite
    .private_segment_fixed_size: 0
    .sgpr_count:     22
    .sgpr_spill_count: 0
    .symbol:         fft_rtc_fwd_len192_factors_2_2_6_8_wgs_256_tpt_16_dim2_sp_ip_CI_sbcc_twdbase8_3step_dirReg_intrinsicReadWrite.kd
    .uniform_work_group_size: 1
    .uses_dynamic_stack: false
    .vgpr_count:     183
    .vgpr_spill_count: 0
    .wavefront_size: 32
    .workgroup_processor_mode: 1
amdhsa.target:   amdgcn-amd-amdhsa--gfx1201
amdhsa.version:
  - 1
  - 2
...

	.end_amdgpu_metadata
